;; amdgpu-corpus repo=ROCm/rocFFT kind=compiled arch=gfx1030 opt=O3
	.text
	.amdgcn_target "amdgcn-amd-amdhsa--gfx1030"
	.amdhsa_code_object_version 6
	.protected	fft_rtc_back_len1300_factors_10_10_13_wgs_130_tpt_130_dp_ip_CI_unitstride_sbrr_R2C_dirReg ; -- Begin function fft_rtc_back_len1300_factors_10_10_13_wgs_130_tpt_130_dp_ip_CI_unitstride_sbrr_R2C_dirReg
	.globl	fft_rtc_back_len1300_factors_10_10_13_wgs_130_tpt_130_dp_ip_CI_unitstride_sbrr_R2C_dirReg
	.p2align	8
	.type	fft_rtc_back_len1300_factors_10_10_13_wgs_130_tpt_130_dp_ip_CI_unitstride_sbrr_R2C_dirReg,@function
fft_rtc_back_len1300_factors_10_10_13_wgs_130_tpt_130_dp_ip_CI_unitstride_sbrr_R2C_dirReg: ; @fft_rtc_back_len1300_factors_10_10_13_wgs_130_tpt_130_dp_ip_CI_unitstride_sbrr_R2C_dirReg
; %bb.0:
	s_clause 0x2
	s_load_dwordx4 s[8:11], s[4:5], 0x0
	s_load_dwordx2 s[2:3], s[4:5], 0x50
	s_load_dwordx2 s[12:13], s[4:5], 0x18
	v_mul_u32_u24_e32 v1, 0x1f9, v0
	v_mov_b32_e32 v3, 0
	v_add_nc_u32_sdwa v5, s6, v1 dst_sel:DWORD dst_unused:UNUSED_PAD src0_sel:DWORD src1_sel:WORD_1
	v_mov_b32_e32 v1, 0
	v_mov_b32_e32 v6, v3
	v_mov_b32_e32 v2, 0
	s_waitcnt lgkmcnt(0)
	v_cmp_lt_u64_e64 s0, s[10:11], 2
	s_and_b32 vcc_lo, exec_lo, s0
	s_cbranch_vccnz .LBB0_8
; %bb.1:
	s_load_dwordx2 s[0:1], s[4:5], 0x10
	v_mov_b32_e32 v1, 0
	s_add_u32 s6, s12, 8
	v_mov_b32_e32 v2, 0
	s_addc_u32 s7, s13, 0
	s_mov_b64 s[16:17], 1
	s_waitcnt lgkmcnt(0)
	s_add_u32 s14, s0, 8
	s_addc_u32 s15, s1, 0
.LBB0_2:                                ; =>This Inner Loop Header: Depth=1
	s_load_dwordx2 s[18:19], s[14:15], 0x0
                                        ; implicit-def: $vgpr7_vgpr8
	s_mov_b32 s0, exec_lo
	s_waitcnt lgkmcnt(0)
	v_or_b32_e32 v4, s19, v6
	v_cmpx_ne_u64_e32 0, v[3:4]
	s_xor_b32 s1, exec_lo, s0
	s_cbranch_execz .LBB0_4
; %bb.3:                                ;   in Loop: Header=BB0_2 Depth=1
	v_cvt_f32_u32_e32 v4, s18
	v_cvt_f32_u32_e32 v7, s19
	s_sub_u32 s0, 0, s18
	s_subb_u32 s20, 0, s19
	v_fmac_f32_e32 v4, 0x4f800000, v7
	v_rcp_f32_e32 v4, v4
	v_mul_f32_e32 v4, 0x5f7ffffc, v4
	v_mul_f32_e32 v7, 0x2f800000, v4
	v_trunc_f32_e32 v7, v7
	v_fmac_f32_e32 v4, 0xcf800000, v7
	v_cvt_u32_f32_e32 v7, v7
	v_cvt_u32_f32_e32 v4, v4
	v_mul_lo_u32 v8, s0, v7
	v_mul_hi_u32 v9, s0, v4
	v_mul_lo_u32 v10, s20, v4
	v_add_nc_u32_e32 v8, v9, v8
	v_mul_lo_u32 v9, s0, v4
	v_add_nc_u32_e32 v8, v8, v10
	v_mul_hi_u32 v10, v4, v9
	v_mul_lo_u32 v11, v4, v8
	v_mul_hi_u32 v12, v4, v8
	v_mul_hi_u32 v13, v7, v9
	v_mul_lo_u32 v9, v7, v9
	v_mul_hi_u32 v14, v7, v8
	v_mul_lo_u32 v8, v7, v8
	v_add_co_u32 v10, vcc_lo, v10, v11
	v_add_co_ci_u32_e32 v11, vcc_lo, 0, v12, vcc_lo
	v_add_co_u32 v9, vcc_lo, v10, v9
	v_add_co_ci_u32_e32 v9, vcc_lo, v11, v13, vcc_lo
	v_add_co_ci_u32_e32 v10, vcc_lo, 0, v14, vcc_lo
	v_add_co_u32 v8, vcc_lo, v9, v8
	v_add_co_ci_u32_e32 v9, vcc_lo, 0, v10, vcc_lo
	v_add_co_u32 v4, vcc_lo, v4, v8
	v_add_co_ci_u32_e32 v7, vcc_lo, v7, v9, vcc_lo
	v_mul_hi_u32 v8, s0, v4
	v_mul_lo_u32 v10, s20, v4
	v_mul_lo_u32 v9, s0, v7
	v_add_nc_u32_e32 v8, v8, v9
	v_mul_lo_u32 v9, s0, v4
	v_add_nc_u32_e32 v8, v8, v10
	v_mul_hi_u32 v10, v4, v9
	v_mul_lo_u32 v11, v4, v8
	v_mul_hi_u32 v12, v4, v8
	v_mul_hi_u32 v13, v7, v9
	v_mul_lo_u32 v9, v7, v9
	v_mul_hi_u32 v14, v7, v8
	v_mul_lo_u32 v8, v7, v8
	v_add_co_u32 v10, vcc_lo, v10, v11
	v_add_co_ci_u32_e32 v11, vcc_lo, 0, v12, vcc_lo
	v_add_co_u32 v9, vcc_lo, v10, v9
	v_add_co_ci_u32_e32 v9, vcc_lo, v11, v13, vcc_lo
	v_add_co_ci_u32_e32 v10, vcc_lo, 0, v14, vcc_lo
	v_add_co_u32 v8, vcc_lo, v9, v8
	v_add_co_ci_u32_e32 v9, vcc_lo, 0, v10, vcc_lo
	v_add_co_u32 v4, vcc_lo, v4, v8
	v_add_co_ci_u32_e32 v11, vcc_lo, v7, v9, vcc_lo
	v_mul_hi_u32 v13, v5, v4
	v_mad_u64_u32 v[9:10], null, v6, v4, 0
	v_mad_u64_u32 v[7:8], null, v5, v11, 0
	;; [unrolled: 1-line block ×3, first 2 shown]
	v_add_co_u32 v4, vcc_lo, v13, v7
	v_add_co_ci_u32_e32 v7, vcc_lo, 0, v8, vcc_lo
	v_add_co_u32 v4, vcc_lo, v4, v9
	v_add_co_ci_u32_e32 v4, vcc_lo, v7, v10, vcc_lo
	v_add_co_ci_u32_e32 v7, vcc_lo, 0, v12, vcc_lo
	v_add_co_u32 v4, vcc_lo, v4, v11
	v_add_co_ci_u32_e32 v9, vcc_lo, 0, v7, vcc_lo
	v_mul_lo_u32 v10, s19, v4
	v_mad_u64_u32 v[7:8], null, s18, v4, 0
	v_mul_lo_u32 v11, s18, v9
	v_sub_co_u32 v7, vcc_lo, v5, v7
	v_add3_u32 v8, v8, v11, v10
	v_sub_nc_u32_e32 v10, v6, v8
	v_subrev_co_ci_u32_e64 v10, s0, s19, v10, vcc_lo
	v_add_co_u32 v11, s0, v4, 2
	v_add_co_ci_u32_e64 v12, s0, 0, v9, s0
	v_sub_co_u32 v13, s0, v7, s18
	v_sub_co_ci_u32_e32 v8, vcc_lo, v6, v8, vcc_lo
	v_subrev_co_ci_u32_e64 v10, s0, 0, v10, s0
	v_cmp_le_u32_e32 vcc_lo, s18, v13
	v_cmp_eq_u32_e64 s0, s19, v8
	v_cndmask_b32_e64 v13, 0, -1, vcc_lo
	v_cmp_le_u32_e32 vcc_lo, s19, v10
	v_cndmask_b32_e64 v14, 0, -1, vcc_lo
	v_cmp_le_u32_e32 vcc_lo, s18, v7
	;; [unrolled: 2-line block ×3, first 2 shown]
	v_cndmask_b32_e64 v15, 0, -1, vcc_lo
	v_cmp_eq_u32_e32 vcc_lo, s19, v10
	v_cndmask_b32_e64 v7, v15, v7, s0
	v_cndmask_b32_e32 v10, v14, v13, vcc_lo
	v_add_co_u32 v13, vcc_lo, v4, 1
	v_add_co_ci_u32_e32 v14, vcc_lo, 0, v9, vcc_lo
	v_cmp_ne_u32_e32 vcc_lo, 0, v10
	v_cndmask_b32_e32 v8, v14, v12, vcc_lo
	v_cndmask_b32_e32 v10, v13, v11, vcc_lo
	v_cmp_ne_u32_e32 vcc_lo, 0, v7
	v_cndmask_b32_e32 v8, v9, v8, vcc_lo
	v_cndmask_b32_e32 v7, v4, v10, vcc_lo
.LBB0_4:                                ;   in Loop: Header=BB0_2 Depth=1
	s_andn2_saveexec_b32 s0, s1
	s_cbranch_execz .LBB0_6
; %bb.5:                                ;   in Loop: Header=BB0_2 Depth=1
	v_cvt_f32_u32_e32 v4, s18
	s_sub_i32 s1, 0, s18
	v_rcp_iflag_f32_e32 v4, v4
	v_mul_f32_e32 v4, 0x4f7ffffe, v4
	v_cvt_u32_f32_e32 v4, v4
	v_mul_lo_u32 v7, s1, v4
	v_mul_hi_u32 v7, v4, v7
	v_add_nc_u32_e32 v4, v4, v7
	v_mul_hi_u32 v4, v5, v4
	v_mul_lo_u32 v7, v4, s18
	v_add_nc_u32_e32 v8, 1, v4
	v_sub_nc_u32_e32 v7, v5, v7
	v_subrev_nc_u32_e32 v9, s18, v7
	v_cmp_le_u32_e32 vcc_lo, s18, v7
	v_cndmask_b32_e32 v7, v7, v9, vcc_lo
	v_cndmask_b32_e32 v4, v4, v8, vcc_lo
	v_cmp_le_u32_e32 vcc_lo, s18, v7
	v_add_nc_u32_e32 v8, 1, v4
	v_cndmask_b32_e32 v7, v4, v8, vcc_lo
	v_mov_b32_e32 v8, v3
.LBB0_6:                                ;   in Loop: Header=BB0_2 Depth=1
	s_or_b32 exec_lo, exec_lo, s0
	s_load_dwordx2 s[0:1], s[6:7], 0x0
	v_mul_lo_u32 v4, v8, s18
	v_mul_lo_u32 v11, v7, s19
	v_mad_u64_u32 v[9:10], null, v7, s18, 0
	s_add_u32 s16, s16, 1
	s_addc_u32 s17, s17, 0
	s_add_u32 s6, s6, 8
	s_addc_u32 s7, s7, 0
	;; [unrolled: 2-line block ×3, first 2 shown]
	v_add3_u32 v4, v10, v11, v4
	v_sub_co_u32 v5, vcc_lo, v5, v9
	v_sub_co_ci_u32_e32 v4, vcc_lo, v6, v4, vcc_lo
	s_waitcnt lgkmcnt(0)
	v_mul_lo_u32 v6, s1, v5
	v_mul_lo_u32 v4, s0, v4
	v_mad_u64_u32 v[1:2], null, s0, v5, v[1:2]
	v_cmp_ge_u64_e64 s0, s[16:17], s[10:11]
	s_and_b32 vcc_lo, exec_lo, s0
	v_add3_u32 v2, v6, v2, v4
	s_cbranch_vccnz .LBB0_9
; %bb.7:                                ;   in Loop: Header=BB0_2 Depth=1
	v_mov_b32_e32 v5, v7
	v_mov_b32_e32 v6, v8
	s_branch .LBB0_2
.LBB0_8:
	v_mov_b32_e32 v8, v6
	v_mov_b32_e32 v7, v5
.LBB0_9:
	s_lshl_b64 s[0:1], s[10:11], 3
	v_mul_hi_u32 v3, 0x1f81f82, v0
	s_add_u32 s0, s12, s0
	s_addc_u32 s1, s13, s1
	s_load_dwordx2 s[0:1], s[0:1], 0x0
	s_load_dwordx2 s[4:5], s[4:5], 0x20
	v_mul_u32_u24_e32 v3, 0x82, v3
	v_sub_nc_u32_e32 v52, v0, v3
	v_lshl_add_u32 v148, v52, 4, 0
	s_waitcnt lgkmcnt(0)
	v_mul_lo_u32 v4, s0, v8
	v_mul_lo_u32 v5, s1, v7
	v_mad_u64_u32 v[1:2], null, s0, v7, v[1:2]
	v_cmp_gt_u64_e32 vcc_lo, s[4:5], v[7:8]
	v_add3_u32 v2, v5, v2, v4
	v_lshlrev_b64 v[54:55], 4, v[1:2]
	s_and_saveexec_b32 s1, vcc_lo
	s_cbranch_execz .LBB0_11
; %bb.10:
	v_mov_b32_e32 v53, 0
	v_add_co_u32 v2, s0, s2, v54
	v_add_co_ci_u32_e64 v3, s0, s3, v55, s0
	v_lshlrev_b64 v[0:1], 4, v[52:53]
	v_add_co_u32 v16, s0, v2, v0
	v_add_co_ci_u32_e64 v17, s0, v3, v1, s0
	v_add_co_u32 v4, s0, 0x800, v16
	v_add_co_ci_u32_e64 v5, s0, 0, v17, s0
	;; [unrolled: 2-line block ×10, first 2 shown]
	s_clause 0x9
	global_load_dwordx4 v[0:3], v[16:17], off
	global_load_dwordx4 v[4:7], v[4:5], off offset:32
	global_load_dwordx4 v[8:11], v[8:9], off offset:64
	;; [unrolled: 1-line block ×9, first 2 shown]
	s_waitcnt vmcnt(9)
	ds_write_b128 v148, v[0:3]
	s_waitcnt vmcnt(8)
	ds_write_b128 v148, v[4:7] offset:2080
	s_waitcnt vmcnt(7)
	ds_write_b128 v148, v[8:11] offset:4160
	;; [unrolled: 2-line block ×9, first 2 shown]
.LBB0_11:
	s_or_b32 exec_lo, exec_lo, s1
	s_waitcnt lgkmcnt(0)
	s_barrier
	buffer_gl0_inv
	ds_read_b128 v[8:11], v148 offset:6240
	ds_read_b128 v[12:15], v148 offset:10400
	;; [unrolled: 1-line block ×8, first 2 shown]
	ds_read_b128 v[32:35], v148
	ds_read_b128 v[36:39], v148 offset:2080
	s_mov_b32 s10, 0x134454ff
	s_mov_b32 s11, 0xbfee6f0e
	;; [unrolled: 1-line block ×11, first 2 shown]
	s_waitcnt lgkmcnt(8)
	v_add_f64 v[84:85], v[8:9], -v[12:13]
	s_waitcnt lgkmcnt(7)
	v_add_f64 v[40:41], v[14:15], v[18:19]
	s_waitcnt lgkmcnt(6)
	v_add_f64 v[42:43], v[10:11], v[2:3]
	v_add_f64 v[44:45], v[12:13], v[16:17]
	;; [unrolled: 1-line block ×3, first 2 shown]
	v_add_f64 v[64:65], v[8:9], -v[0:1]
	v_add_f64 v[66:67], v[12:13], -v[16:17]
	;; [unrolled: 1-line block ×3, first 2 shown]
	s_waitcnt lgkmcnt(4)
	v_add_f64 v[46:47], v[20:21], v[24:25]
	s_waitcnt lgkmcnt(2)
	v_add_f64 v[48:49], v[28:29], v[4:5]
	v_add_f64 v[50:51], v[22:23], v[26:27]
	;; [unrolled: 1-line block ×3, first 2 shown]
	s_waitcnt lgkmcnt(1)
	v_add_f64 v[58:59], v[32:33], v[28:29]
	v_add_f64 v[86:87], v[10:11], -v[14:15]
	v_add_f64 v[88:89], v[14:15], -v[10:11]
	;; [unrolled: 1-line block ×6, first 2 shown]
	v_add_f64 v[60:61], v[34:35], v[30:31]
	s_waitcnt lgkmcnt(0)
	v_add_f64 v[10:11], v[38:39], v[10:11]
	v_add_f64 v[68:69], v[30:31], -v[6:7]
	v_add_f64 v[72:73], v[28:29], -v[20:21]
	v_fma_f64 v[40:41], v[40:41], -0.5, v[38:39]
	v_fma_f64 v[42:43], v[42:43], -0.5, v[38:39]
	;; [unrolled: 1-line block ×4, first 2 shown]
	v_add_f64 v[36:37], v[36:37], v[8:9]
	v_add_f64 v[74:75], v[20:21], -v[28:29]
	v_add_f64 v[28:29], v[28:29], -v[4:5]
	;; [unrolled: 1-line block ×8, first 2 shown]
	v_fma_f64 v[46:47], v[46:47], -0.5, v[32:33]
	v_fma_f64 v[32:33], v[48:49], -0.5, v[32:33]
	;; [unrolled: 1-line block ×4, first 2 shown]
	v_add_f64 v[20:21], v[58:59], v[20:21]
	v_add_f64 v[50:51], v[84:85], v[90:91]
	;; [unrolled: 1-line block ×4, first 2 shown]
	v_add_f64 v[76:77], v[30:31], -v[22:23]
	v_fma_f64 v[100:101], v[64:65], s[0:1], v[40:41]
	v_fma_f64 v[102:103], v[66:67], s[10:11], v[42:43]
	;; [unrolled: 1-line block ×8, first 2 shown]
	v_add_f64 v[30:31], v[22:23], -v[30:31]
	v_add_f64 v[22:23], v[60:61], v[22:23]
	v_add_f64 v[12:13], v[36:37], v[12:13]
	;; [unrolled: 1-line block ×3, first 2 shown]
	v_add_f64 v[106:107], v[6:7], -v[26:27]
	v_add_f64 v[60:61], v[72:73], v[82:83]
	v_add_f64 v[8:9], v[8:9], v[38:39]
	v_fma_f64 v[14:15], v[68:69], s[10:11], v[46:47]
	v_fma_f64 v[36:37], v[68:69], s[0:1], v[46:47]
	;; [unrolled: 1-line block ×12, first 2 shown]
	v_add_f64 v[66:67], v[74:75], v[98:99]
	v_fma_f64 v[34:35], v[80:81], s[0:1], v[34:35]
	v_fma_f64 v[44:45], v[96:97], s[4:5], v[44:45]
	;; [unrolled: 1-line block ×4, first 2 shown]
	v_add_f64 v[108:109], v[26:27], -v[6:7]
	v_add_f64 v[20:21], v[20:21], v[24:25]
	v_add_f64 v[22:23], v[22:23], v[26:27]
	;; [unrolled: 1-line block ×4, first 2 shown]
	s_mov_b32 s17, 0xbfd3c6ef
	s_mov_b32 s16, s12
	v_fma_f64 v[14:15], v[78:79], s[6:7], v[14:15]
	v_fma_f64 v[16:17], v[78:79], s[4:5], v[36:37]
	;; [unrolled: 1-line block ×10, first 2 shown]
	v_add_f64 v[58:59], v[76:77], v[106:107]
	v_fma_f64 v[32:33], v[80:81], s[6:7], v[48:49]
	v_fma_f64 v[36:37], v[28:29], s[4:5], v[72:73]
	;; [unrolled: 1-line block ×6, first 2 shown]
	s_mov_b32 s15, 0x3fe9e377
	s_mov_b32 s19, 0xbfe9e377
	;; [unrolled: 1-line block ×3, first 2 shown]
	v_add_f64 v[30:31], v[30:31], v[108:109]
	v_add_f64 v[4:5], v[20:21], v[4:5]
	v_add_f64 v[6:7], v[22:23], v[6:7]
	v_add_f64 v[12:13], v[12:13], v[0:1]
	v_add_f64 v[10:11], v[10:11], v[2:3]
	v_fma_f64 v[68:69], v[60:61], s[12:13], v[14:15]
	v_fma_f64 v[72:73], v[66:67], s[12:13], v[18:19]
	v_mul_f64 v[44:45], v[70:71], s[6:7]
	v_mul_f64 v[46:47], v[82:83], s[10:11]
	;; [unrolled: 1-line block ×8, first 2 shown]
	v_fma_f64 v[74:75], v[58:59], s[12:13], v[26:27]
	v_fma_f64 v[58:59], v[58:59], s[12:13], v[32:33]
	;; [unrolled: 1-line block ×4, first 2 shown]
	v_and_b32_e32 v53, 0xff, v52
	s_barrier
	v_fma_f64 v[32:33], v[30:31], s[12:13], v[36:37]
	v_fma_f64 v[36:37], v[30:31], s[12:13], v[28:29]
	v_mul_lo_u16 v0, 0xcd, v53
	buffer_gl0_inv
	v_add_f64 v[2:3], v[6:7], v[10:11]
	v_add_f64 v[6:7], v[6:7], -v[10:11]
	v_mov_b32_e32 v53, 0x640
	v_fma_f64 v[26:27], v[56:57], s[14:15], v[44:45]
	v_fma_f64 v[28:29], v[38:39], s[12:13], v[46:47]
	;; [unrolled: 1-line block ×8, first 2 shown]
	v_lshrrev_b16 v16, 11, v0
	v_add_f64 v[0:1], v[4:5], v[12:13]
	v_add_f64 v[4:5], v[4:5], -v[12:13]
	v_mul_lo_u16 v17, v16, 10
	v_mul_u32_u24_sdwa v16, v16, v53 dst_sel:DWORD dst_unused:UNUSED_PAD src0_sel:WORD_0 src1_sel:DWORD
	v_sub_nc_u16 v17, v52, v17
	v_add_f64 v[8:9], v[68:69], v[26:27]
	v_add_f64 v[12:13], v[72:73], v[28:29]
	;; [unrolled: 1-line block ×8, first 2 shown]
	v_add_f64 v[32:33], v[32:33], -v[38:39]
	v_add_f64 v[38:39], v[60:61], -v[46:47]
	;; [unrolled: 1-line block ×8, first 2 shown]
	v_mov_b32_e32 v42, 9
	v_mad_u32_u24 v43, 0x90, v52, v148
	ds_write_b128 v43, v[0:3]
	ds_write_b128 v43, v[4:7] offset:80
	ds_write_b128 v43, v[8:11] offset:16
	;; [unrolled: 1-line block ×8, first 2 shown]
	v_mul_u32_u24_sdwa v42, v17, v42 dst_sel:DWORD dst_unused:UNUSED_PAD src0_sel:BYTE_0 src1_sel:DWORD
	ds_write_b128 v43, v[38:41] offset:144
	s_waitcnt lgkmcnt(0)
	s_barrier
	v_lshlrev_b32_e32 v34, 4, v42
	buffer_gl0_inv
	s_clause 0x8
	global_load_dwordx4 v[0:3], v34, s[8:9] offset:32
	global_load_dwordx4 v[4:7], v34, s[8:9] offset:64
	;; [unrolled: 1-line block ×4, first 2 shown]
	global_load_dwordx4 v[18:21], v34, s[8:9]
	global_load_dwordx4 v[22:25], v34, s[8:9] offset:16
	global_load_dwordx4 v[26:29], v34, s[8:9] offset:48
	;; [unrolled: 1-line block ×4, first 2 shown]
	ds_read_b128 v[38:41], v148 offset:6240
	ds_read_b128 v[42:45], v148 offset:10400
	;; [unrolled: 1-line block ×9, first 2 shown]
	ds_read_b128 v[80:83], v148
	s_waitcnt vmcnt(0) lgkmcnt(0)
	s_barrier
	buffer_gl0_inv
	v_mul_f64 v[50:51], v[38:39], v[2:3]
	v_mul_f64 v[84:85], v[42:43], v[6:7]
	;; [unrolled: 1-line block ×18, first 2 shown]
	v_fma_f64 v[40:41], v[40:41], v[0:1], -v[50:51]
	v_fma_f64 v[44:45], v[44:45], v[4:5], -v[84:85]
	;; [unrolled: 1-line block ×4, first 2 shown]
	v_fma_f64 v[58:59], v[64:65], v[22:23], v[92:93]
	v_fma_f64 v[22:23], v[66:67], v[22:23], -v[24:25]
	v_fma_f64 v[0:1], v[38:39], v[0:1], v[2:3]
	v_fma_f64 v[2:3], v[68:69], v[26:27], v[94:95]
	v_fma_f64 v[24:25], v[70:71], v[26:27], -v[28:29]
	v_fma_f64 v[4:5], v[42:43], v[4:5], v[6:7]
	;; [unrolled: 3-line block ×4, first 2 shown]
	v_fma_f64 v[30:31], v[78:79], v[34:35], -v[36:37]
	v_fma_f64 v[18:19], v[60:61], v[18:19], v[20:21]
	v_add_f64 v[88:89], v[40:41], -v[44:45]
	v_add_f64 v[14:15], v[44:45], v[48:49]
	v_add_f64 v[32:33], v[40:41], v[50:51]
	v_add_f64 v[90:91], v[50:51], -v[48:49]
	v_add_f64 v[92:93], v[44:45], -v[40:41]
	;; [unrolled: 1-line block ×6, first 2 shown]
	v_add_f64 v[66:67], v[80:81], v[58:59]
	v_add_f64 v[20:21], v[2:3], v[6:7]
	;; [unrolled: 1-line block ×5, first 2 shown]
	v_add_f64 v[56:57], v[4:5], -v[8:9]
	v_add_f64 v[60:61], v[0:1], -v[10:11]
	v_add_f64 v[34:35], v[58:59], v[26:27]
	v_add_f64 v[38:39], v[22:23], v[30:31]
	v_add_f64 v[64:65], v[26:27], -v[6:7]
	v_add_f64 v[68:69], v[82:83], v[22:23]
	v_add_f64 v[70:71], v[2:3], -v[58:59]
	v_add_f64 v[72:73], v[6:7], -v[26:27]
	;; [unrolled: 1-line block ×3, first 2 shown]
	v_fma_f64 v[14:15], v[14:15], -0.5, v[12:13]
	v_fma_f64 v[32:33], v[32:33], -0.5, v[12:13]
	v_add_f64 v[78:79], v[24:25], -v[22:23]
	v_add_f64 v[86:87], v[0:1], -v[4:5]
	;; [unrolled: 1-line block ×7, first 2 shown]
	v_add_f64 v[0:1], v[18:19], v[0:1]
	v_add_f64 v[12:13], v[12:13], v[40:41]
	v_fma_f64 v[42:43], v[42:43], -0.5, v[18:19]
	v_fma_f64 v[46:47], v[46:47], -0.5, v[18:19]
	v_add_f64 v[18:19], v[58:59], -v[26:27]
	v_add_f64 v[22:23], v[22:23], -v[30:31]
	v_fma_f64 v[20:21], v[20:21], -0.5, v[80:81]
	v_fma_f64 v[34:35], v[34:35], -0.5, v[80:81]
	;; [unrolled: 1-line block ×4, first 2 shown]
	v_add_f64 v[40:41], v[62:63], v[64:65]
	v_add_f64 v[58:59], v[88:89], v[90:91]
	;; [unrolled: 1-line block ×3, first 2 shown]
	v_fma_f64 v[102:103], v[60:61], s[0:1], v[14:15]
	v_fma_f64 v[104:105], v[56:57], s[10:11], v[32:33]
	;; [unrolled: 1-line block ×4, first 2 shown]
	v_add_f64 v[76:77], v[30:31], -v[28:29]
	v_add_f64 v[84:85], v[28:29], -v[30:31]
	v_add_f64 v[2:3], v[66:67], v[2:3]
	v_add_f64 v[24:25], v[68:69], v[24:25]
	;; [unrolled: 1-line block ×4, first 2 shown]
	v_fma_f64 v[64:65], v[98:99], s[10:11], v[42:43]
	v_fma_f64 v[80:81], v[96:97], s[0:1], v[46:47]
	;; [unrolled: 1-line block ×15, first 2 shown]
	v_add_f64 v[60:61], v[70:71], v[72:73]
	v_add_f64 v[70:71], v[86:87], v[100:101]
	;; [unrolled: 1-line block ×3, first 2 shown]
	v_fma_f64 v[38:39], v[110:111], s[0:1], v[38:39]
	v_add_f64 v[2:3], v[2:3], v[6:7]
	v_add_f64 v[6:7], v[24:25], v[28:29]
	;; [unrolled: 1-line block ×3, first 2 shown]
	v_fma_f64 v[64:65], v[96:97], s[6:7], v[64:65]
	v_fma_f64 v[72:73], v[98:99], s[6:7], v[80:81]
	;; [unrolled: 1-line block ×4, first 2 shown]
	v_add_f64 v[4:5], v[4:5], v[48:49]
	v_fma_f64 v[8:9], v[112:113], s[6:7], v[12:13]
	v_fma_f64 v[12:13], v[112:113], s[4:5], v[20:21]
	;; [unrolled: 1-line block ×10, first 2 shown]
	v_add_f64 v[62:63], v[74:75], v[76:77]
	v_add_f64 v[58:59], v[78:79], v[84:85]
	v_fma_f64 v[34:35], v[18:19], s[4:5], v[68:69]
	v_fma_f64 v[18:19], v[18:19], s[6:7], v[38:39]
	v_add_f64 v[26:27], v[2:3], v[26:27]
	v_add_f64 v[6:7], v[6:7], v[30:31]
	v_add_f64 v[10:11], v[0:1], v[10:11]
	v_fma_f64 v[36:37], v[70:71], s[12:13], v[64:65]
	v_fma_f64 v[44:45], v[56:57], s[12:13], v[72:73]
	;; [unrolled: 1-line block ×4, first 2 shown]
	v_add_f64 v[4:5], v[4:5], v[50:51]
	v_fma_f64 v[30:31], v[40:41], s[12:13], v[8:9]
	v_fma_f64 v[70:71], v[40:41], s[12:13], v[12:13]
	;; [unrolled: 1-line block ×4, first 2 shown]
	v_mul_f64 v[48:49], v[80:81], s[6:7]
	v_mul_f64 v[56:57], v[82:83], s[10:11]
	;; [unrolled: 1-line block ×8, first 2 shown]
	v_fma_f64 v[20:21], v[62:63], s[12:13], v[24:25]
	v_fma_f64 v[28:29], v[62:63], s[12:13], v[28:29]
	;; [unrolled: 1-line block ×4, first 2 shown]
	v_add_f64 v[0:1], v[26:27], v[10:11]
	v_add_f64 v[24:25], v[26:27], -v[10:11]
	v_add_f64 v[2:3], v[6:7], v[4:5]
	v_add_f64 v[26:27], v[6:7], -v[4:5]
	v_fma_f64 v[22:23], v[36:37], s[14:15], v[48:49]
	v_fma_f64 v[56:57], v[44:45], s[12:13], v[56:57]
	;; [unrolled: 1-line block ×8, first 2 shown]
	v_mov_b32_e32 v64, 4
	v_cmp_gt_u32_e64 s0, 0x64, v52
	v_lshlrev_b32_sdwa v17, v64, v17 dst_sel:DWORD dst_unused:UNUSED_PAD src0_sel:DWORD src1_sel:BYTE_0
	v_add3_u32 v16, 0, v16, v17
	v_add_f64 v[4:5], v[30:31], v[22:23]
	v_add_f64 v[8:9], v[40:41], v[56:57]
	;; [unrolled: 1-line block ×4, first 2 shown]
	v_add_f64 v[48:49], v[30:31], -v[22:23]
	v_add_f64 v[50:51], v[20:21], -v[36:37]
	v_add_f64 v[20:21], v[70:71], v[42:43]
	v_add_f64 v[10:11], v[34:35], v[58:59]
	;; [unrolled: 1-line block ×4, first 2 shown]
	v_add_f64 v[44:45], v[40:41], -v[56:57]
	v_add_f64 v[40:41], v[60:61], -v[62:63]
	;; [unrolled: 1-line block ×6, first 2 shown]
	ds_write_b128 v16, v[0:3]
	ds_write_b128 v16, v[24:27] offset:800
	ds_write_b128 v16, v[4:7] offset:160
	;; [unrolled: 1-line block ×9, first 2 shown]
	s_waitcnt lgkmcnt(0)
	s_barrier
	buffer_gl0_inv
                                        ; implicit-def: $vgpr18_vgpr19
                                        ; implicit-def: $vgpr30_vgpr31
                                        ; implicit-def: $vgpr34_vgpr35
	s_and_saveexec_b32 s1, s0
	s_cbranch_execz .LBB0_13
; %bb.12:
	ds_read_b128 v[0:3], v148
	ds_read_b128 v[4:7], v148 offset:1600
	ds_read_b128 v[8:11], v148 offset:3200
	;; [unrolled: 1-line block ×12, first 2 shown]
.LBB0_13:
	s_or_b32 exec_lo, exec_lo, s1
	s_waitcnt lgkmcnt(0)
	s_barrier
	buffer_gl0_inv
	s_and_saveexec_b32 s33, s0
	s_cbranch_execz .LBB0_15
; %bb.14:
	v_add_nc_u32_e32 v53, 0xffffff9c, v52
	v_mov_b32_e32 v57, 0
	s_mov_b32 s31, 0x3fddbe06
	s_mov_b32 s30, 0x4267c47c
	s_mov_b32 s26, 0x66966769
	v_cndmask_b32_e64 v53, v53, v52, s0
	s_mov_b32 s14, 0x2ef20147
	s_mov_b32 s28, 0x42a4c3d2
	;; [unrolled: 1-line block ×4, first 2 shown]
	v_mul_i32_i24_e32 v56, 12, v53
	s_mov_b32 s27, 0x3fefc445
	s_mov_b32 s15, 0xbfedeba7
	;; [unrolled: 1-line block ×4, first 2 shown]
	v_lshlrev_b64 v[56:57], 4, v[56:57]
	s_mov_b32 s19, 0xbfcea1e5
	s_mov_b32 s23, 0xbfea55e2
	;; [unrolled: 1-line block ×5, first 2 shown]
	v_add_co_u32 v76, s0, s8, v56
	v_add_co_ci_u32_e64 v77, s0, s9, v57, s0
	s_mov_b32 s6, 0xebaa3ed8
	s_mov_b32 s0, 0xb2365da1
	;; [unrolled: 1-line block ×3, first 2 shown]
	s_clause 0x1
	global_load_dwordx4 v[58:61], v[76:77], off offset:1520
	global_load_dwordx4 v[62:65], v[76:77], off offset:1504
	s_mov_b32 s4, 0xd0032e0c
	s_mov_b32 s24, 0xe00740e9
	;; [unrolled: 1-line block ×11, first 2 shown]
	s_waitcnt vmcnt(1)
	v_mul_f64 v[56:57], v[50:51], v[60:61]
	v_fma_f64 v[56:57], v[48:49], v[58:59], v[56:57]
	v_mul_f64 v[48:49], v[48:49], v[60:61]
	v_fma_f64 v[48:49], v[50:51], v[58:59], -v[48:49]
	s_clause 0x1
	global_load_dwordx4 v[58:61], v[76:77], off offset:1536
	global_load_dwordx4 v[66:69], v[76:77], off offset:1552
	s_waitcnt vmcnt(1)
	v_mul_f64 v[50:51], v[46:47], v[60:61]
	v_fma_f64 v[50:51], v[44:45], v[58:59], v[50:51]
	v_mul_f64 v[44:45], v[44:45], v[60:61]
	v_add_f64 v[82:83], v[56:57], -v[50:51]
	v_fma_f64 v[44:45], v[46:47], v[58:59], -v[44:45]
	v_mul_f64 v[46:47], v[26:27], v[64:65]
	v_mul_f64 v[100:101], v[82:83], s[30:31]
	v_add_f64 v[86:87], v[48:49], -v[44:45]
	v_fma_f64 v[46:47], v[24:25], v[62:63], v[46:47]
	v_mul_f64 v[24:25], v[24:25], v[64:65]
	v_mul_f64 v[175:176], v[82:83], s[26:27]
	;; [unrolled: 1-line block ×4, first 2 shown]
	v_fma_f64 v[60:61], v[26:27], v[62:63], -v[24:25]
	s_waitcnt vmcnt(0)
	v_mul_f64 v[24:25], v[42:43], v[68:69]
	v_fma_f64 v[58:59], v[40:41], v[66:67], v[24:25]
	v_mul_f64 v[24:25], v[40:41], v[68:69]
	v_add_f64 v[84:85], v[46:47], -v[58:59]
	v_fma_f64 v[40:41], v[42:43], v[66:67], -v[24:25]
	s_clause 0x1
	global_load_dwordx4 v[24:27], v[76:77], off offset:1488
	global_load_dwordx4 v[68:71], v[76:77], off offset:1472
	v_mul_f64 v[169:170], v[84:85], s[14:15]
	v_add_f64 v[80:81], v[60:61], -v[40:41]
	v_mul_f64 v[171:172], v[80:81], s[14:15]
	s_waitcnt vmcnt(1)
	v_mul_f64 v[42:43], v[22:23], v[26:27]
	v_fma_f64 v[62:63], v[20:21], v[24:25], v[42:43]
	v_mul_f64 v[20:21], v[20:21], v[26:27]
	v_fma_f64 v[64:65], v[22:23], v[24:25], -v[20:21]
	s_clause 0x1
	global_load_dwordx4 v[20:23], v[76:77], off offset:1568
	global_load_dwordx4 v[24:27], v[76:77], off offset:1584
	s_waitcnt vmcnt(1)
	v_mul_f64 v[42:43], v[38:39], v[22:23]
	v_mul_f64 v[22:23], v[36:37], v[22:23]
	v_fma_f64 v[42:43], v[36:37], v[20:21], v[42:43]
	v_fma_f64 v[36:37], v[38:39], v[20:21], -v[22:23]
	v_mul_f64 v[20:21], v[14:15], v[70:71]
	v_add_f64 v[90:91], v[62:63], -v[42:43]
	v_add_f64 v[88:89], v[64:65], -v[36:37]
	v_fma_f64 v[66:67], v[12:13], v[68:69], v[20:21]
	v_mul_f64 v[12:13], v[12:13], v[70:71]
	v_mul_f64 v[106:107], v[90:91], s[30:31]
	v_mul_f64 v[104:105], v[88:89], s[30:31]
	v_fma_f64 v[68:69], v[14:15], v[68:69], -v[12:13]
	s_waitcnt vmcnt(0)
	v_mul_f64 v[12:13], v[34:35], v[26:27]
	v_fma_f64 v[38:39], v[32:33], v[24:25], v[12:13]
	v_mul_f64 v[12:13], v[32:33], v[26:27]
	v_add_f64 v[94:95], v[66:67], -v[38:39]
	v_fma_f64 v[32:33], v[34:35], v[24:25], -v[12:13]
	s_clause 0x1
	global_load_dwordx4 v[12:15], v[76:77], off offset:1456
	global_load_dwordx4 v[20:23], v[76:77], off offset:1440
	v_add_f64 v[92:93], v[68:69], -v[32:33]
	s_waitcnt vmcnt(1)
	v_mul_f64 v[24:25], v[10:11], v[14:15]
	v_fma_f64 v[72:73], v[8:9], v[12:13], v[24:25]
	v_mul_f64 v[8:9], v[8:9], v[14:15]
	v_fma_f64 v[74:75], v[10:11], v[12:13], -v[8:9]
	s_clause 0x1
	global_load_dwordx4 v[8:11], v[76:77], off offset:1600
	global_load_dwordx4 v[12:15], v[76:77], off offset:1616
	s_waitcnt vmcnt(1)
	v_mul_f64 v[24:25], v[30:31], v[10:11]
	v_mul_f64 v[10:11], v[28:29], v[10:11]
	v_fma_f64 v[34:35], v[28:29], v[8:9], v[24:25]
	v_fma_f64 v[70:71], v[30:31], v[8:9], -v[10:11]
	v_mul_f64 v[8:9], v[6:7], v[22:23]
	v_add_f64 v[98:99], v[72:73], -v[34:35]
	v_add_f64 v[96:97], v[74:75], -v[70:71]
	v_fma_f64 v[8:9], v[4:5], v[20:21], v[8:9]
	v_mul_f64 v[4:5], v[4:5], v[22:23]
	v_mul_f64 v[22:23], v[94:95], s[30:31]
	v_fma_f64 v[10:11], v[6:7], v[20:21], -v[4:5]
	s_waitcnt vmcnt(0)
	v_mul_f64 v[4:5], v[18:19], v[14:15]
	v_mul_f64 v[6:7], v[98:99], s[30:31]
	;; [unrolled: 1-line block ×3, first 2 shown]
	v_fma_f64 v[76:77], v[16:17], v[12:13], v[4:5]
	v_mul_f64 v[4:5], v[16:17], v[14:15]
	v_mul_f64 v[14:15], v[84:85], s[30:31]
	v_add_f64 v[16:17], v[8:9], -v[76:77]
	v_fma_f64 v[78:79], v[18:19], v[12:13], -v[4:5]
	v_mul_f64 v[4:5], v[96:97], s[30:31]
	v_mul_f64 v[12:13], v[80:81], s[30:31]
	s_mov_b32 s31, 0xbfddbe06
	v_add_f64 v[132:133], v[8:9], v[76:77]
	v_mul_f64 v[18:19], v[16:17], s[18:19]
	v_mul_f64 v[24:25], v[16:17], s[12:13]
	;; [unrolled: 1-line block ×6, first 2 shown]
	v_add_f64 v[108:109], v[10:11], v[78:79]
	v_fma_f64 v[110:111], v[108:109], s[16:17], v[18:19]
	v_fma_f64 v[18:19], v[108:109], s[16:17], -v[18:19]
	v_fma_f64 v[112:113], v[108:109], s[4:5], v[24:25]
	v_fma_f64 v[24:25], v[108:109], s[4:5], -v[24:25]
	;; [unrolled: 2-line block ×6, first 2 shown]
	v_add_f64 v[108:109], v[10:11], -v[78:79]
	v_add_f64 v[18:19], v[2:3], v[18:19]
	v_add_f64 v[155:156], v[2:3], v[112:113]
	;; [unrolled: 1-line block ×10, first 2 shown]
	v_mul_f64 v[114:115], v[108:109], s[18:19]
	v_mul_f64 v[124:125], v[108:109], s[12:13]
	;; [unrolled: 1-line block ×6, first 2 shown]
	s_mov_b32 s31, 0x3fe5384d
	s_mov_b32 s30, s12
	v_fma_f64 v[134:135], v[132:133], s[16:17], -v[114:115]
	v_fma_f64 v[136:137], v[132:133], s[16:17], v[114:115]
	v_fma_f64 v[138:139], v[132:133], s[4:5], -v[124:125]
	v_fma_f64 v[124:125], v[132:133], s[4:5], v[124:125]
	;; [unrolled: 2-line block ×6, first 2 shown]
	v_add_f64 v[108:109], v[2:3], v[10:11]
	v_add_f64 v[114:115], v[0:1], v[8:9]
	;; [unrolled: 1-line block ×17, first 2 shown]
	v_fma_f64 v[0:1], v[116:117], s[24:25], v[6:7]
	v_add_f64 v[138:139], v[2:3], v[120:121]
	v_add_f64 v[134:135], v[2:3], v[16:17]
	v_fma_f64 v[2:3], v[118:119], s[24:25], -v[4:5]
	v_add_f64 v[120:121], v[68:69], v[32:33]
	v_add_f64 v[124:125], v[64:65], v[36:37]
	v_mul_f64 v[151:152], v[88:89], s[28:29]
	v_fma_f64 v[6:7], v[116:117], s[24:25], -v[6:7]
	v_fma_f64 v[4:5], v[118:119], s[24:25], v[4:5]
	v_add_f64 v[142:143], v[56:57], v[50:51]
	v_add_f64 v[74:75], v[108:109], v[74:75]
	;; [unrolled: 1-line block ×4, first 2 shown]
	v_mul_f64 v[8:9], v[94:95], s[12:13]
	v_add_f64 v[2:3], v[2:3], v[10:11]
	v_add_f64 v[6:7], v[6:7], v[18:19]
	;; [unrolled: 1-line block ×3, first 2 shown]
	v_mul_f64 v[18:19], v[96:97], s[26:27]
	v_add_f64 v[68:69], v[74:75], v[68:69]
	v_add_f64 v[66:67], v[72:73], v[66:67]
	v_fma_f64 v[10:11], v[120:121], s[4:5], v[8:9]
	v_fma_f64 v[8:9], v[120:121], s[4:5], -v[8:9]
	v_add_f64 v[64:65], v[68:69], v[64:65]
	v_add_f64 v[0:1], v[10:11], v[0:1]
	v_mul_f64 v[10:11], v[92:93], s[12:13]
	v_add_f64 v[6:7], v[8:9], v[6:7]
	v_fma_f64 v[16:17], v[122:123], s[4:5], -v[10:11]
	v_fma_f64 v[8:9], v[122:123], s[4:5], v[10:11]
	v_fma_f64 v[10:11], v[142:143], s[6:7], v[177:178]
	v_add_f64 v[2:3], v[16:17], v[2:3]
	v_mul_f64 v[16:17], v[90:91], s[28:29]
	v_add_f64 v[4:5], v[8:9], v[4:5]
	v_fma_f64 v[126:127], v[124:125], s[10:11], v[16:17]
	v_fma_f64 v[8:9], v[124:125], s[10:11], -v[16:17]
	v_mul_f64 v[16:17], v[98:99], s[26:27]
	v_add_f64 v[0:1], v[126:127], v[0:1]
	v_add_f64 v[126:127], v[62:63], v[42:43]
	;; [unrolled: 1-line block ×4, first 2 shown]
	v_fma_f64 v[128:129], v[126:127], s[10:11], -v[151:152]
	v_fma_f64 v[8:9], v[126:127], s[10:11], v[151:152]
	v_mul_f64 v[151:152], v[94:95], s[22:23]
	v_add_f64 v[2:3], v[128:129], v[2:3]
	v_add_f64 v[128:129], v[60:61], v[40:41]
	;; [unrolled: 1-line block ×3, first 2 shown]
	v_fma_f64 v[153:154], v[120:121], s[10:11], v[151:152]
	v_add_f64 v[60:61], v[64:65], v[60:61]
	v_fma_f64 v[130:131], v[128:129], s[0:1], v[169:170]
	v_fma_f64 v[8:9], v[128:129], s[0:1], -v[169:170]
	v_add_f64 v[0:1], v[130:131], v[0:1]
	v_add_f64 v[130:131], v[46:47], v[58:59]
	;; [unrolled: 1-line block ×4, first 2 shown]
	v_fma_f64 v[140:141], v[130:131], s[0:1], -v[171:172]
	v_fma_f64 v[8:9], v[130:131], s[0:1], v[171:172]
	v_mul_f64 v[171:172], v[82:83], s[14:15]
	v_add_f64 v[46:47], v[46:47], v[56:57]
	v_add_f64 v[173:174], v[140:141], v[2:3]
	;; [unrolled: 1-line block ×6, first 2 shown]
	v_fma_f64 v[8:9], v[140:141], s[6:7], -v[175:176]
	v_add_f64 v[4:5], v[10:11], v[4:5]
	v_fma_f64 v[10:11], v[118:119], s[6:7], -v[18:19]
	v_fma_f64 v[18:19], v[118:119], s[6:7], v[18:19]
	v_fma_f64 v[2:3], v[140:141], s[6:7], v[175:176]
	v_add_f64 v[44:45], v[48:49], v[44:45]
	v_add_f64 v[6:7], v[8:9], v[6:7]
	v_fma_f64 v[8:9], v[116:117], s[6:7], v[16:17]
	v_add_f64 v[10:11], v[10:11], v[157:158]
	v_fma_f64 v[16:17], v[116:117], s[6:7], -v[16:17]
	v_add_f64 v[18:19], v[18:19], v[159:160]
	v_add_f64 v[2:3], v[2:3], v[0:1]
	v_fma_f64 v[0:1], v[142:143], s[6:7], -v[177:178]
	v_add_f64 v[40:41], v[44:45], v[40:41]
	v_add_f64 v[44:45], v[46:47], v[58:59]
	v_add_f64 v[8:9], v[8:9], v[155:156]
	v_add_f64 v[16:17], v[16:17], v[24:25]
	v_fma_f64 v[24:25], v[120:121], s[10:11], -v[151:152]
	v_mul_f64 v[151:152], v[96:97], s[30:31]
	v_add_f64 v[0:1], v[0:1], v[173:174]
	v_mul_f64 v[173:174], v[86:87], s[14:15]
	v_add_f64 v[36:37], v[40:41], v[36:37]
	v_add_f64 v[40:41], v[44:45], v[42:43]
	;; [unrolled: 1-line block ×3, first 2 shown]
	v_mul_f64 v[153:154], v[92:93], s[22:23]
	v_add_f64 v[16:17], v[24:25], v[16:17]
	v_add_f64 v[32:33], v[36:37], v[32:33]
	;; [unrolled: 1-line block ×3, first 2 shown]
	v_fma_f64 v[155:156], v[122:123], s[10:11], -v[153:154]
	v_fma_f64 v[24:25], v[122:123], s[10:11], v[153:154]
	v_fma_f64 v[153:154], v[120:121], s[24:25], v[22:23]
	v_fma_f64 v[22:23], v[120:121], s[24:25], -v[22:23]
	v_add_f64 v[32:33], v[32:33], v[70:71]
	v_add_f64 v[36:37], v[36:37], v[34:35]
	;; [unrolled: 1-line block ×3, first 2 shown]
	v_mul_f64 v[155:156], v[90:91], s[34:35]
	v_add_f64 v[18:19], v[24:25], v[18:19]
	v_add_f64 v[34:35], v[32:33], v[78:79]
	;; [unrolled: 1-line block ×3, first 2 shown]
	v_fma_f64 v[157:158], v[124:125], s[16:17], v[155:156]
	v_fma_f64 v[24:25], v[124:125], s[16:17], -v[155:156]
	v_add_f64 v[8:9], v[157:158], v[8:9]
	v_mul_f64 v[157:158], v[88:89], s[34:35]
	v_add_f64 v[16:17], v[24:25], v[16:17]
	v_fma_f64 v[169:170], v[126:127], s[16:17], -v[157:158]
	v_fma_f64 v[24:25], v[126:127], s[16:17], v[157:158]
	v_add_f64 v[10:11], v[169:170], v[10:11]
	v_fma_f64 v[169:170], v[128:129], s[24:25], v[14:15]
	v_fma_f64 v[14:15], v[128:129], s[24:25], -v[14:15]
	v_add_f64 v[18:19], v[24:25], v[18:19]
	v_mul_f64 v[24:25], v[98:99], s[30:31]
	v_add_f64 v[8:9], v[169:170], v[8:9]
	v_fma_f64 v[169:170], v[130:131], s[24:25], -v[12:13]
	v_add_f64 v[14:15], v[14:15], v[16:17]
	v_fma_f64 v[12:13], v[130:131], s[24:25], v[12:13]
	v_fma_f64 v[16:17], v[140:141], s[0:1], -v[171:172]
	v_add_f64 v[169:170], v[169:170], v[10:11]
	v_fma_f64 v[10:11], v[140:141], s[0:1], v[171:172]
	v_add_f64 v[12:13], v[12:13], v[18:19]
	v_fma_f64 v[18:19], v[142:143], s[0:1], v[173:174]
	;; [unrolled: 2-line block ×3, first 2 shown]
	v_fma_f64 v[24:25], v[116:117], s[4:5], -v[24:25]
	v_add_f64 v[10:11], v[10:11], v[8:9]
	v_fma_f64 v[8:9], v[142:143], s[0:1], -v[173:174]
	v_add_f64 v[12:13], v[18:19], v[12:13]
	;; [unrolled: 2-line block ×3, first 2 shown]
	v_add_f64 v[24:25], v[24:25], v[26:27]
	v_fma_f64 v[26:27], v[118:119], s[4:5], v[151:152]
	v_mul_f64 v[151:152], v[98:99], s[18:19]
	v_add_f64 v[8:9], v[8:9], v[169:170]
	v_mul_f64 v[169:170], v[86:87], s[28:29]
	v_add_f64 v[18:19], v[18:19], v[163:164]
	v_add_f64 v[16:17], v[153:154], v[16:17]
	v_fma_f64 v[153:154], v[122:123], s[24:25], -v[20:21]
	v_add_f64 v[26:27], v[26:27], v[165:166]
	v_add_f64 v[22:23], v[22:23], v[24:25]
	v_fma_f64 v[20:21], v[122:123], s[24:25], v[20:21]
	v_mul_f64 v[163:164], v[82:83], s[28:29]
	s_mov_b32 s29, 0x3fedeba7
	s_mov_b32 s28, s14
	v_mul_f64 v[165:166], v[86:87], s[12:13]
	v_mul_f64 v[86:87], v[86:87], s[18:19]
	v_add_f64 v[18:19], v[153:154], v[18:19]
	v_mul_f64 v[153:154], v[90:91], s[20:21]
	v_add_f64 v[20:21], v[20:21], v[26:27]
	v_fma_f64 v[26:27], v[142:143], s[10:11], v[169:170]
	v_fma_f64 v[155:156], v[124:125], s[6:7], v[153:154]
	v_fma_f64 v[24:25], v[124:125], s[6:7], -v[153:154]
	v_mul_f64 v[153:154], v[96:97], s[18:19]
	v_add_f64 v[16:17], v[155:156], v[16:17]
	v_mul_f64 v[155:156], v[88:89], s[20:21]
	v_add_f64 v[22:23], v[24:25], v[22:23]
	v_fma_f64 v[157:158], v[126:127], s[6:7], -v[155:156]
	v_fma_f64 v[24:25], v[126:127], s[6:7], v[155:156]
	v_mul_f64 v[155:156], v[94:95], s[28:29]
	v_add_f64 v[18:19], v[157:158], v[18:19]
	v_mul_f64 v[157:158], v[84:85], s[34:35]
	v_add_f64 v[20:21], v[24:25], v[20:21]
	v_fma_f64 v[159:160], v[128:129], s[16:17], v[157:158]
	v_fma_f64 v[24:25], v[128:129], s[16:17], -v[157:158]
	v_mul_f64 v[157:158], v[92:93], s[28:29]
	v_add_f64 v[16:17], v[159:160], v[16:17]
	v_mul_f64 v[159:160], v[80:81], s[34:35]
	v_add_f64 v[22:23], v[24:25], v[22:23]
	v_fma_f64 v[24:25], v[130:131], s[16:17], v[159:160]
	v_fma_f64 v[161:162], v[130:131], s[16:17], -v[159:160]
	v_mul_f64 v[159:160], v[84:85], s[22:23]
	v_add_f64 v[20:21], v[24:25], v[20:21]
	v_fma_f64 v[24:25], v[140:141], s[10:11], -v[163:164]
	v_add_f64 v[161:162], v[161:162], v[18:19]
	v_fma_f64 v[18:19], v[140:141], s[10:11], v[163:164]
	v_mul_f64 v[163:164], v[82:83], s[12:13]
	v_add_f64 v[20:21], v[26:27], v[20:21]
	v_add_f64 v[22:23], v[24:25], v[22:23]
	v_fma_f64 v[24:25], v[116:117], s[16:17], -v[151:152]
	v_fma_f64 v[26:27], v[118:119], s[16:17], v[153:154]
	v_add_f64 v[18:19], v[18:19], v[16:17]
	v_fma_f64 v[16:17], v[142:143], s[10:11], -v[169:170]
	v_fma_f64 v[151:152], v[116:117], s[16:17], v[151:152]
	v_mul_f64 v[169:170], v[96:97], s[14:15]
	v_mul_f64 v[96:97], v[96:97], s[22:23]
	v_add_f64 v[24:25], v[24:25], v[28:29]
	v_fma_f64 v[28:29], v[120:121], s[0:1], -v[155:156]
	v_add_f64 v[26:27], v[26:27], v[167:168]
	v_add_f64 v[16:17], v[16:17], v[161:162]
	v_mul_f64 v[161:162], v[80:81], s[22:23]
	v_mul_f64 v[167:168], v[98:99], s[14:15]
	v_add_f64 v[146:147], v[151:152], v[146:147]
	v_fma_f64 v[151:152], v[118:119], s[16:17], -v[153:154]
	v_mul_f64 v[98:99], v[98:99], s[22:23]
	v_fma_f64 v[38:39], v[118:119], s[10:11], -v[96:97]
	v_add_f64 v[24:25], v[28:29], v[24:25]
	v_fma_f64 v[28:29], v[122:123], s[0:1], v[157:158]
	v_add_f64 v[144:145], v[151:152], v[144:145]
	v_fma_f64 v[151:152], v[120:121], s[0:1], v[155:156]
	v_fma_f64 v[36:37], v[116:117], s[10:11], v[98:99]
	v_add_f64 v[38:39], v[38:39], v[112:113]
	v_add_f64 v[26:27], v[28:29], v[26:27]
	v_fma_f64 v[28:29], v[124:125], s[24:25], -v[106:107]
	v_fma_f64 v[106:107], v[124:125], s[24:25], v[106:107]
	v_add_f64 v[146:147], v[151:152], v[146:147]
	v_fma_f64 v[151:152], v[122:123], s[0:1], -v[157:158]
	v_add_f64 v[36:37], v[36:37], v[110:111]
	v_add_f64 v[24:25], v[28:29], v[24:25]
	v_fma_f64 v[28:29], v[126:127], s[24:25], v[104:105]
	v_fma_f64 v[104:105], v[126:127], s[24:25], -v[104:105]
	v_add_f64 v[106:107], v[106:107], v[146:147]
	v_add_f64 v[144:145], v[151:152], v[144:145]
	v_fma_f64 v[146:147], v[142:143], s[4:5], -v[165:166]
	v_add_f64 v[26:27], v[28:29], v[26:27]
	v_fma_f64 v[28:29], v[128:129], s[10:11], -v[159:160]
	v_add_f64 v[104:105], v[104:105], v[144:145]
	v_fma_f64 v[144:145], v[128:129], s[10:11], v[159:160]
	v_add_f64 v[24:25], v[28:29], v[24:25]
	v_fma_f64 v[28:29], v[130:131], s[10:11], v[161:162]
	v_add_f64 v[106:107], v[144:145], v[106:107]
	v_fma_f64 v[144:145], v[130:131], s[10:11], -v[161:162]
	v_add_f64 v[28:29], v[28:29], v[26:27]
	v_fma_f64 v[26:27], v[140:141], s[4:5], -v[163:164]
	v_add_f64 v[104:105], v[144:145], v[104:105]
	v_fma_f64 v[144:145], v[140:141], s[4:5], v[163:164]
	v_add_f64 v[26:27], v[26:27], v[24:25]
	v_fma_f64 v[24:25], v[142:143], s[4:5], v[165:166]
	v_add_f64 v[104:105], v[146:147], v[104:105]
	v_add_f64 v[106:107], v[144:145], v[106:107]
	v_fma_f64 v[144:145], v[116:117], s[0:1], v[167:168]
	v_add_f64 v[24:25], v[24:25], v[28:29]
	v_fma_f64 v[28:29], v[116:117], s[0:1], -v[167:168]
	v_add_f64 v[138:139], v[144:145], v[138:139]
	v_fma_f64 v[144:145], v[118:119], s[0:1], -v[169:170]
	v_add_f64 v[28:29], v[28:29], v[30:31]
	v_fma_f64 v[30:31], v[118:119], s[0:1], v[169:170]
	v_add_f64 v[136:137], v[144:145], v[136:137]
	v_add_f64 v[30:31], v[30:31], v[149:150]
	v_mul_f64 v[149:150], v[94:95], s[18:19]
	v_mul_f64 v[94:95], v[94:95], s[20:21]
	v_fma_f64 v[171:172], v[120:121], s[16:17], -v[149:150]
	v_fma_f64 v[144:145], v[120:121], s[16:17], v[149:150]
	v_fma_f64 v[40:41], v[120:121], s[6:7], v[94:95]
	v_add_f64 v[28:29], v[171:172], v[28:29]
	v_mul_f64 v[171:172], v[92:93], s[18:19]
	v_add_f64 v[138:139], v[144:145], v[138:139]
	v_mul_f64 v[92:93], v[92:93], s[20:21]
	v_add_f64 v[36:37], v[40:41], v[36:37]
	v_fma_f64 v[173:174], v[122:123], s[16:17], v[171:172]
	v_fma_f64 v[144:145], v[122:123], s[16:17], -v[171:172]
	v_fma_f64 v[42:43], v[122:123], s[6:7], -v[92:93]
	v_add_f64 v[30:31], v[173:174], v[30:31]
	v_mul_f64 v[173:174], v[90:91], s[30:31]
	v_add_f64 v[136:137], v[144:145], v[136:137]
	v_mul_f64 v[90:91], v[90:91], s[14:15]
	v_add_f64 v[38:39], v[42:43], v[38:39]
	v_fma_f64 v[175:176], v[124:125], s[4:5], -v[173:174]
	v_fma_f64 v[144:145], v[124:125], s[4:5], v[173:174]
	v_fma_f64 v[44:45], v[124:125], s[0:1], v[90:91]
	v_add_f64 v[28:29], v[175:176], v[28:29]
	v_mul_f64 v[175:176], v[88:89], s[30:31]
	v_add_f64 v[138:139], v[144:145], v[138:139]
	v_mul_f64 v[88:89], v[88:89], s[14:15]
	v_add_f64 v[36:37], v[44:45], v[36:37]
	v_fma_f64 v[177:178], v[126:127], s[4:5], v[175:176]
	v_fma_f64 v[144:145], v[126:127], s[4:5], -v[175:176]
	v_fma_f64 v[46:47], v[126:127], s[0:1], -v[88:89]
	v_add_f64 v[30:31], v[177:178], v[30:31]
	v_mul_f64 v[177:178], v[84:85], s[26:27]
	v_add_f64 v[136:137], v[144:145], v[136:137]
	v_mul_f64 v[84:85], v[84:85], s[12:13]
	v_add_f64 v[38:39], v[46:47], v[38:39]
	v_fma_f64 v[46:47], v[142:143], s[16:17], -v[86:87]
	v_fma_f64 v[179:180], v[128:129], s[6:7], -v[177:178]
	v_fma_f64 v[144:145], v[128:129], s[6:7], v[177:178]
	v_fma_f64 v[40:41], v[128:129], s[4:5], v[84:85]
	v_add_f64 v[28:29], v[179:180], v[28:29]
	v_mul_f64 v[179:180], v[80:81], s[26:27]
	v_add_f64 v[138:139], v[144:145], v[138:139]
	v_add_f64 v[36:37], v[40:41], v[36:37]
	v_fma_f64 v[181:182], v[130:131], s[6:7], v[179:180]
	v_fma_f64 v[144:145], v[130:131], s[6:7], -v[179:180]
	v_add_f64 v[181:182], v[181:182], v[30:31]
	v_fma_f64 v[30:31], v[140:141], s[24:25], -v[100:101]
	v_add_f64 v[136:137], v[144:145], v[136:137]
	v_fma_f64 v[100:101], v[140:141], s[24:25], v[100:101]
	v_fma_f64 v[144:145], v[142:143], s[24:25], -v[102:103]
	v_add_f64 v[30:31], v[30:31], v[28:29]
	v_fma_f64 v[28:29], v[142:143], s[24:25], v[102:103]
	v_add_f64 v[102:103], v[100:101], v[138:139]
	v_add_f64 v[100:101], v[144:145], v[136:137]
	v_fma_f64 v[136:137], v[116:117], s[10:11], -v[98:99]
	v_add_f64 v[28:29], v[28:29], v[181:182]
	v_add_f64 v[134:135], v[136:137], v[134:135]
	v_fma_f64 v[136:137], v[118:119], s[10:11], v[96:97]
	v_add_f64 v[132:133], v[136:137], v[132:133]
	v_fma_f64 v[136:137], v[120:121], s[6:7], -v[94:95]
	v_add_f64 v[134:135], v[136:137], v[134:135]
	v_fma_f64 v[136:137], v[122:123], s[6:7], v[92:93]
	v_add_f64 v[132:133], v[136:137], v[132:133]
	v_fma_f64 v[136:137], v[124:125], s[0:1], -v[90:91]
	;; [unrolled: 4-line block ×3, first 2 shown]
	v_add_f64 v[134:135], v[136:137], v[134:135]
	v_mul_f64 v[136:137], v[80:81], s[12:13]
	v_fma_f64 v[80:81], v[130:131], s[4:5], v[136:137]
	v_fma_f64 v[42:43], v[130:131], s[4:5], -v[136:137]
	v_add_f64 v[80:81], v[80:81], v[132:133]
	v_mul_f64 v[132:133], v[82:83], s[18:19]
	v_add_f64 v[40:41], v[42:43], v[38:39]
	v_fma_f64 v[82:83], v[140:141], s[16:17], -v[132:133]
	v_fma_f64 v[44:45], v[140:141], s[16:17], v[132:133]
	v_add_f64 v[82:83], v[82:83], v[134:135]
	v_fma_f64 v[134:135], v[142:143], s[16:17], v[86:87]
	v_add_f64 v[38:39], v[44:45], v[36:37]
	v_add_f64 v[36:37], v[46:47], v[40:41]
	;; [unrolled: 1-line block ×3, first 2 shown]
	ds_write_b128 v148, v[28:31] offset:3200
	ds_write_b128 v148, v[24:27] offset:4800
	;; [unrolled: 1-line block ×11, first 2 shown]
	ds_write_b128 v148, v[32:35]
	ds_write_b128 v148, v[36:39] offset:19200
.LBB0_15:
	s_or_b32 exec_lo, exec_lo, s33
	s_waitcnt lgkmcnt(0)
	s_barrier
	buffer_gl0_inv
	ds_read_b128 v[4:7], v148
	v_lshlrev_b32_e32 v0, 4, v52
	s_add_u32 s1, s8, 0x50a0
	s_addc_u32 s4, s9, 0
	s_mov_b32 s5, exec_lo
                                        ; implicit-def: $vgpr8_vgpr9
                                        ; implicit-def: $vgpr10_vgpr11
	v_sub_nc_u32_e32 v12, 0, v0
                                        ; implicit-def: $vgpr0_vgpr1
	v_cmpx_ne_u32_e32 0, v52
	s_xor_b32 s5, exec_lo, s5
	s_cbranch_execz .LBB0_17
; %bb.16:
	v_mov_b32_e32 v53, 0
	v_lshlrev_b64 v[0:1], 4, v[52:53]
	v_add_co_u32 v0, s0, s1, v0
	v_add_co_ci_u32_e64 v1, s0, s4, v1, s0
	global_load_dwordx4 v[13:16], v[0:1], off
	ds_read_b128 v[0:3], v12 offset:20800
	s_waitcnt lgkmcnt(0)
	v_add_f64 v[8:9], v[4:5], -v[0:1]
	v_add_f64 v[10:11], v[6:7], v[2:3]
	v_add_f64 v[2:3], v[6:7], -v[2:3]
	v_add_f64 v[0:1], v[4:5], v[0:1]
	v_mul_f64 v[6:7], v[8:9], 0.5
	v_mul_f64 v[4:5], v[10:11], 0.5
	;; [unrolled: 1-line block ×3, first 2 shown]
	s_waitcnt vmcnt(0)
	v_mul_f64 v[8:9], v[6:7], v[15:16]
	v_fma_f64 v[10:11], v[4:5], v[15:16], v[2:3]
	v_fma_f64 v[2:3], v[4:5], v[15:16], -v[2:3]
	v_fma_f64 v[17:18], v[0:1], 0.5, v[8:9]
	v_fma_f64 v[0:1], v[0:1], 0.5, -v[8:9]
	v_fma_f64 v[10:11], -v[13:14], v[6:7], v[10:11]
	v_fma_f64 v[2:3], -v[13:14], v[6:7], v[2:3]
	v_fma_f64 v[8:9], v[4:5], v[13:14], v[17:18]
	v_fma_f64 v[0:1], -v[4:5], v[13:14], v[0:1]
                                        ; implicit-def: $vgpr4_vgpr5
.LBB0_17:
	s_andn2_saveexec_b32 s0, s5
	s_cbranch_execz .LBB0_19
; %bb.18:
	v_mov_b32_e32 v15, 0
	s_waitcnt lgkmcnt(0)
	v_add_f64 v[8:9], v[4:5], v[6:7]
	v_add_f64 v[0:1], v[4:5], -v[6:7]
	v_mov_b32_e32 v10, 0
	v_mov_b32_e32 v11, 0
	ds_read_b64 v[13:14], v15 offset:10408
	v_mov_b32_e32 v2, v10
	v_mov_b32_e32 v3, v11
	s_waitcnt lgkmcnt(0)
	v_xor_b32_e32 v14, 0x80000000, v14
	ds_write_b64 v15, v[13:14] offset:10408
.LBB0_19:
	s_or_b32 exec_lo, exec_lo, s0
	s_waitcnt lgkmcnt(0)
	v_add_nc_u32_e32 v4, 0x82, v52
	v_mov_b32_e32 v5, 0
	ds_write2_b64 v148, v[8:9], v[10:11] offset1:1
	ds_write_b128 v12, v[0:3] offset:20800
	v_lshlrev_b64 v[6:7], 4, v[4:5]
	v_add_nc_u32_e32 v4, 0x104, v52
	v_add_co_u32 v6, s0, s1, v6
	v_add_co_ci_u32_e64 v7, s0, s4, v7, s0
	global_load_dwordx4 v[13:16], v[6:7], off
	v_lshlrev_b64 v[6:7], 4, v[4:5]
	v_add_nc_u32_e32 v4, 0x186, v52
	v_lshlrev_b64 v[10:11], 4, v[4:5]
	v_add_co_u32 v6, s0, s1, v6
	v_add_co_ci_u32_e64 v7, s0, s4, v7, s0
	v_add_nc_u32_e32 v4, 0x208, v52
	v_add_co_u32 v10, s0, s1, v10
	global_load_dwordx4 v[17:20], v[6:7], off
	ds_read_b128 v[0:3], v148 offset:2080
	ds_read_b128 v[6:9], v12 offset:18720
	v_add_co_ci_u32_e64 v11, s0, s4, v11, s0
	global_load_dwordx4 v[21:24], v[10:11], off
	s_waitcnt lgkmcnt(0)
	v_add_f64 v[10:11], v[0:1], -v[6:7]
	v_add_f64 v[25:26], v[2:3], v[8:9]
	v_add_f64 v[2:3], v[2:3], -v[8:9]
	v_add_f64 v[0:1], v[0:1], v[6:7]
	v_mul_f64 v[8:9], v[10:11], 0.5
	v_mul_f64 v[10:11], v[25:26], 0.5
	v_mul_f64 v[2:3], v[2:3], 0.5
	s_waitcnt vmcnt(2)
	v_mul_f64 v[6:7], v[8:9], v[15:16]
	v_fma_f64 v[25:26], v[10:11], v[15:16], v[2:3]
	v_fma_f64 v[2:3], v[10:11], v[15:16], -v[2:3]
	v_fma_f64 v[15:16], v[0:1], 0.5, v[6:7]
	v_fma_f64 v[0:1], v[0:1], 0.5, -v[6:7]
	v_fma_f64 v[6:7], -v[13:14], v[8:9], v[25:26]
	v_fma_f64 v[2:3], -v[13:14], v[8:9], v[2:3]
	v_fma_f64 v[8:9], v[10:11], v[13:14], v[15:16]
	v_fma_f64 v[0:1], -v[10:11], v[13:14], v[0:1]
	v_lshlrev_b64 v[10:11], 4, v[4:5]
	v_add_nc_u32_e32 v13, 0x800, v148
	v_add_nc_u32_e32 v4, 0x1000, v148
	ds_write2_b64 v13, v[8:9], v[6:7] offset0:4 offset1:5
	ds_write_b128 v12, v[0:3] offset:18720
	v_add_co_u32 v10, s0, s1, v10
	ds_read_b128 v[0:3], v148 offset:4160
	ds_read_b128 v[6:9], v12 offset:16640
	v_add_co_ci_u32_e64 v11, s0, s4, v11, s0
	global_load_dwordx4 v[13:16], v[10:11], off
	s_waitcnt lgkmcnt(0)
	v_add_f64 v[10:11], v[0:1], -v[6:7]
	v_add_f64 v[25:26], v[2:3], v[8:9]
	v_add_f64 v[2:3], v[2:3], -v[8:9]
	v_add_f64 v[0:1], v[0:1], v[6:7]
	v_mul_f64 v[8:9], v[10:11], 0.5
	v_mul_f64 v[10:11], v[25:26], 0.5
	;; [unrolled: 1-line block ×3, first 2 shown]
	s_waitcnt vmcnt(2)
	v_mul_f64 v[6:7], v[8:9], v[19:20]
	v_fma_f64 v[25:26], v[10:11], v[19:20], v[2:3]
	v_fma_f64 v[2:3], v[10:11], v[19:20], -v[2:3]
	v_fma_f64 v[19:20], v[0:1], 0.5, v[6:7]
	v_fma_f64 v[0:1], v[0:1], 0.5, -v[6:7]
	v_fma_f64 v[6:7], -v[17:18], v[8:9], v[25:26]
	v_fma_f64 v[2:3], -v[17:18], v[8:9], v[2:3]
	v_fma_f64 v[8:9], v[10:11], v[17:18], v[19:20]
	v_fma_f64 v[0:1], -v[10:11], v[17:18], v[0:1]
	ds_write2_b64 v4, v[8:9], v[6:7] offset0:8 offset1:9
	ds_write_b128 v12, v[0:3] offset:16640
	ds_read_b128 v[0:3], v148 offset:6240
	ds_read_b128 v[6:9], v12 offset:14560
	v_add_nc_u32_e32 v4, 0x1800, v148
	s_waitcnt lgkmcnt(0)
	v_add_f64 v[10:11], v[0:1], -v[6:7]
	v_add_f64 v[17:18], v[2:3], v[8:9]
	v_add_f64 v[2:3], v[2:3], -v[8:9]
	v_add_f64 v[0:1], v[0:1], v[6:7]
	v_mul_f64 v[8:9], v[10:11], 0.5
	v_mul_f64 v[10:11], v[17:18], 0.5
	;; [unrolled: 1-line block ×3, first 2 shown]
	s_waitcnt vmcnt(1)
	v_mul_f64 v[6:7], v[8:9], v[23:24]
	v_fma_f64 v[17:18], v[10:11], v[23:24], v[2:3]
	v_fma_f64 v[2:3], v[10:11], v[23:24], -v[2:3]
	v_fma_f64 v[19:20], v[0:1], 0.5, v[6:7]
	v_fma_f64 v[0:1], v[0:1], 0.5, -v[6:7]
	v_fma_f64 v[6:7], -v[21:22], v[8:9], v[17:18]
	v_fma_f64 v[2:3], -v[21:22], v[8:9], v[2:3]
	v_fma_f64 v[8:9], v[10:11], v[21:22], v[19:20]
	v_fma_f64 v[0:1], -v[10:11], v[21:22], v[0:1]
	ds_write2_b64 v4, v[8:9], v[6:7] offset0:12 offset1:13
	ds_write_b128 v12, v[0:3] offset:14560
	ds_read_b128 v[0:3], v148 offset:8320
	ds_read_b128 v[6:9], v12 offset:12480
	v_add_nc_u32_e32 v4, 0x2000, v148
	s_waitcnt lgkmcnt(0)
	v_add_f64 v[10:11], v[0:1], -v[6:7]
	v_add_f64 v[17:18], v[2:3], v[8:9]
	v_add_f64 v[2:3], v[2:3], -v[8:9]
	v_add_f64 v[0:1], v[0:1], v[6:7]
	v_mul_f64 v[8:9], v[10:11], 0.5
	v_mul_f64 v[10:11], v[17:18], 0.5
	;; [unrolled: 1-line block ×3, first 2 shown]
	s_waitcnt vmcnt(0)
	v_mul_f64 v[6:7], v[8:9], v[15:16]
	v_fma_f64 v[17:18], v[10:11], v[15:16], v[2:3]
	v_fma_f64 v[2:3], v[10:11], v[15:16], -v[2:3]
	v_fma_f64 v[15:16], v[0:1], 0.5, v[6:7]
	v_fma_f64 v[0:1], v[0:1], 0.5, -v[6:7]
	v_fma_f64 v[6:7], -v[13:14], v[8:9], v[17:18]
	v_fma_f64 v[2:3], -v[13:14], v[8:9], v[2:3]
	v_fma_f64 v[8:9], v[10:11], v[13:14], v[15:16]
	v_fma_f64 v[0:1], -v[10:11], v[13:14], v[0:1]
	ds_write2_b64 v4, v[8:9], v[6:7] offset0:16 offset1:17
	ds_write_b128 v12, v[0:3] offset:12480
	s_waitcnt lgkmcnt(0)
	s_barrier
	buffer_gl0_inv
	s_and_saveexec_b32 s0, vcc_lo
	s_cbranch_execz .LBB0_22
; %bb.20:
	v_mov_b32_e32 v53, v5
	ds_read_b128 v[2:5], v148
	v_add_co_u32 v0, vcc_lo, s2, v54
	v_add_co_ci_u32_e32 v1, vcc_lo, s3, v55, vcc_lo
	v_lshlrev_b64 v[18:19], 4, v[52:53]
	ds_read_b128 v[6:9], v148 offset:2080
	ds_read_b128 v[10:13], v148 offset:4160
	;; [unrolled: 1-line block ×3, first 2 shown]
	v_add_co_u32 v26, vcc_lo, v0, v18
	v_add_co_ci_u32_e32 v27, vcc_lo, v1, v19, vcc_lo
	ds_read_b128 v[18:21], v148 offset:8320
	ds_read_b128 v[22:25], v148 offset:10400
	v_add_co_u32 v28, vcc_lo, 0x800, v26
	v_add_co_ci_u32_e32 v29, vcc_lo, 0, v27, vcc_lo
	s_waitcnt lgkmcnt(5)
	global_store_dwordx4 v[26:27], v[2:5], off
	v_add_co_u32 v2, vcc_lo, 0x1000, v26
	v_add_co_ci_u32_e32 v3, vcc_lo, 0, v27, vcc_lo
	v_add_co_u32 v4, vcc_lo, 0x1800, v26
	v_add_co_ci_u32_e32 v5, vcc_lo, 0, v27, vcc_lo
	;; [unrolled: 2-line block ×4, first 2 shown]
	s_waitcnt lgkmcnt(4)
	global_store_dwordx4 v[28:29], v[6:9], off offset:32
	s_waitcnt lgkmcnt(3)
	global_store_dwordx4 v[2:3], v[10:13], off offset:64
	;; [unrolled: 2-line block ×5, first 2 shown]
	ds_read_b128 v[2:5], v148 offset:12480
	ds_read_b128 v[6:9], v148 offset:14560
	;; [unrolled: 1-line block ×4, first 2 shown]
	v_add_co_u32 v18, vcc_lo, 0x3000, v26
	v_add_co_ci_u32_e32 v19, vcc_lo, 0, v27, vcc_lo
	v_add_co_u32 v20, vcc_lo, 0x3800, v26
	v_add_co_ci_u32_e32 v21, vcc_lo, 0, v27, vcc_lo
	;; [unrolled: 2-line block ×4, first 2 shown]
	v_cmp_eq_u32_e32 vcc_lo, 0x81, v52
	s_waitcnt lgkmcnt(3)
	global_store_dwordx4 v[18:19], v[2:5], off offset:192
	s_waitcnt lgkmcnt(2)
	global_store_dwordx4 v[20:21], v[6:9], off offset:224
	;; [unrolled: 2-line block ×4, first 2 shown]
	s_and_b32 exec_lo, exec_lo, vcc_lo
	s_cbranch_execz .LBB0_22
; %bb.21:
	v_mov_b32_e32 v2, 0
	v_add_co_u32 v0, vcc_lo, 0x5000, v0
	v_add_co_ci_u32_e32 v1, vcc_lo, 0, v1, vcc_lo
	ds_read_b128 v[2:5], v2 offset:20800
	s_waitcnt lgkmcnt(0)
	global_store_dwordx4 v[0:1], v[2:5], off offset:320
.LBB0_22:
	s_endpgm
	.section	.rodata,"a",@progbits
	.p2align	6, 0x0
	.amdhsa_kernel fft_rtc_back_len1300_factors_10_10_13_wgs_130_tpt_130_dp_ip_CI_unitstride_sbrr_R2C_dirReg
		.amdhsa_group_segment_fixed_size 0
		.amdhsa_private_segment_fixed_size 0
		.amdhsa_kernarg_size 88
		.amdhsa_user_sgpr_count 6
		.amdhsa_user_sgpr_private_segment_buffer 1
		.amdhsa_user_sgpr_dispatch_ptr 0
		.amdhsa_user_sgpr_queue_ptr 0
		.amdhsa_user_sgpr_kernarg_segment_ptr 1
		.amdhsa_user_sgpr_dispatch_id 0
		.amdhsa_user_sgpr_flat_scratch_init 0
		.amdhsa_user_sgpr_private_segment_size 0
		.amdhsa_wavefront_size32 1
		.amdhsa_uses_dynamic_stack 0
		.amdhsa_system_sgpr_private_segment_wavefront_offset 0
		.amdhsa_system_sgpr_workgroup_id_x 1
		.amdhsa_system_sgpr_workgroup_id_y 0
		.amdhsa_system_sgpr_workgroup_id_z 0
		.amdhsa_system_sgpr_workgroup_info 0
		.amdhsa_system_vgpr_workitem_id 0
		.amdhsa_next_free_vgpr 183
		.amdhsa_next_free_sgpr 36
		.amdhsa_reserve_vcc 1
		.amdhsa_reserve_flat_scratch 0
		.amdhsa_float_round_mode_32 0
		.amdhsa_float_round_mode_16_64 0
		.amdhsa_float_denorm_mode_32 3
		.amdhsa_float_denorm_mode_16_64 3
		.amdhsa_dx10_clamp 1
		.amdhsa_ieee_mode 1
		.amdhsa_fp16_overflow 0
		.amdhsa_workgroup_processor_mode 1
		.amdhsa_memory_ordered 1
		.amdhsa_forward_progress 0
		.amdhsa_shared_vgpr_count 0
		.amdhsa_exception_fp_ieee_invalid_op 0
		.amdhsa_exception_fp_denorm_src 0
		.amdhsa_exception_fp_ieee_div_zero 0
		.amdhsa_exception_fp_ieee_overflow 0
		.amdhsa_exception_fp_ieee_underflow 0
		.amdhsa_exception_fp_ieee_inexact 0
		.amdhsa_exception_int_div_zero 0
	.end_amdhsa_kernel
	.text
.Lfunc_end0:
	.size	fft_rtc_back_len1300_factors_10_10_13_wgs_130_tpt_130_dp_ip_CI_unitstride_sbrr_R2C_dirReg, .Lfunc_end0-fft_rtc_back_len1300_factors_10_10_13_wgs_130_tpt_130_dp_ip_CI_unitstride_sbrr_R2C_dirReg
                                        ; -- End function
	.section	.AMDGPU.csdata,"",@progbits
; Kernel info:
; codeLenInByte = 11008
; NumSgprs: 38
; NumVgprs: 183
; ScratchSize: 0
; MemoryBound: 0
; FloatMode: 240
; IeeeMode: 1
; LDSByteSize: 0 bytes/workgroup (compile time only)
; SGPRBlocks: 4
; VGPRBlocks: 22
; NumSGPRsForWavesPerEU: 38
; NumVGPRsForWavesPerEU: 183
; Occupancy: 5
; WaveLimiterHint : 1
; COMPUTE_PGM_RSRC2:SCRATCH_EN: 0
; COMPUTE_PGM_RSRC2:USER_SGPR: 6
; COMPUTE_PGM_RSRC2:TRAP_HANDLER: 0
; COMPUTE_PGM_RSRC2:TGID_X_EN: 1
; COMPUTE_PGM_RSRC2:TGID_Y_EN: 0
; COMPUTE_PGM_RSRC2:TGID_Z_EN: 0
; COMPUTE_PGM_RSRC2:TIDIG_COMP_CNT: 0
	.text
	.p2alignl 6, 3214868480
	.fill 48, 4, 3214868480
	.type	__hip_cuid_ae991caf40f4d85c,@object ; @__hip_cuid_ae991caf40f4d85c
	.section	.bss,"aw",@nobits
	.globl	__hip_cuid_ae991caf40f4d85c
__hip_cuid_ae991caf40f4d85c:
	.byte	0                               ; 0x0
	.size	__hip_cuid_ae991caf40f4d85c, 1

	.ident	"AMD clang version 19.0.0git (https://github.com/RadeonOpenCompute/llvm-project roc-6.4.0 25133 c7fe45cf4b819c5991fe208aaa96edf142730f1d)"
	.section	".note.GNU-stack","",@progbits
	.addrsig
	.addrsig_sym __hip_cuid_ae991caf40f4d85c
	.amdgpu_metadata
---
amdhsa.kernels:
  - .args:
      - .actual_access:  read_only
        .address_space:  global
        .offset:         0
        .size:           8
        .value_kind:     global_buffer
      - .offset:         8
        .size:           8
        .value_kind:     by_value
      - .actual_access:  read_only
        .address_space:  global
        .offset:         16
        .size:           8
        .value_kind:     global_buffer
      - .actual_access:  read_only
        .address_space:  global
        .offset:         24
        .size:           8
        .value_kind:     global_buffer
      - .offset:         32
        .size:           8
        .value_kind:     by_value
      - .actual_access:  read_only
        .address_space:  global
        .offset:         40
        .size:           8
        .value_kind:     global_buffer
      - .actual_access:  read_only
        .address_space:  global
        .offset:         48
        .size:           8
        .value_kind:     global_buffer
      - .offset:         56
        .size:           4
        .value_kind:     by_value
      - .actual_access:  read_only
        .address_space:  global
        .offset:         64
        .size:           8
        .value_kind:     global_buffer
      - .actual_access:  read_only
        .address_space:  global
        .offset:         72
        .size:           8
        .value_kind:     global_buffer
      - .address_space:  global
        .offset:         80
        .size:           8
        .value_kind:     global_buffer
    .group_segment_fixed_size: 0
    .kernarg_segment_align: 8
    .kernarg_segment_size: 88
    .language:       OpenCL C
    .language_version:
      - 2
      - 0
    .max_flat_workgroup_size: 130
    .name:           fft_rtc_back_len1300_factors_10_10_13_wgs_130_tpt_130_dp_ip_CI_unitstride_sbrr_R2C_dirReg
    .private_segment_fixed_size: 0
    .sgpr_count:     38
    .sgpr_spill_count: 0
    .symbol:         fft_rtc_back_len1300_factors_10_10_13_wgs_130_tpt_130_dp_ip_CI_unitstride_sbrr_R2C_dirReg.kd
    .uniform_work_group_size: 1
    .uses_dynamic_stack: false
    .vgpr_count:     183
    .vgpr_spill_count: 0
    .wavefront_size: 32
    .workgroup_processor_mode: 1
amdhsa.target:   amdgcn-amd-amdhsa--gfx1030
amdhsa.version:
  - 1
  - 2
...

	.end_amdgpu_metadata
